;; amdgpu-corpus repo=ROCm/AMDMIGraphX kind=compiled arch=gfx1030 opt=O3
	.text
	.amdgcn_target "amdgcn-amd-amdhsa--gfx1030"
	.amdhsa_code_object_version 6
	.protected	reduce_sum_block_f32    ; -- Begin function reduce_sum_block_f32
	.globl	reduce_sum_block_f32
	.p2align	8
	.type	reduce_sum_block_f32,@function
reduce_sum_block_f32:                   ; @reduce_sum_block_f32
; %bb.0:
	s_load_dword s0, s[4:5], 0x1c
	s_waitcnt lgkmcnt(0)
	s_and_b32 s0, s0, 0xffff
	v_mad_u64_u32 v[1:2], null, s6, s0, v[0:1]
	s_mov_b32 s0, exec_lo
	v_cmpx_gt_u32_e32 0x2000, v1
	s_cbranch_execz .LBB0_11
; %bb.1:
	v_lshrrev_b32_e32 v3, 10, v1
	s_load_dwordx4 s[0:3], s[4:5], 0x0
	v_bfe_u32 v4, v1, 8, 2
	v_mov_b32_e32 v2, 0
	v_lshlrev_b32_e32 v7, 2, v0
	v_lshlrev_b32_e32 v1, 13, v3
	v_lshl_or_b32 v1, v4, 11, v1
	v_lshlrev_b64 v[1:2], 2, v[1:2]
	s_waitcnt lgkmcnt(0)
	v_add_co_u32 v8, vcc_lo, s0, v1
	v_add_co_ci_u32_e32 v9, vcc_lo, s1, v2, vcc_lo
	s_mov_b32 s0, exec_lo
	v_add_co_u32 v1, vcc_lo, v8, v7
	v_add_co_ci_u32_e32 v2, vcc_lo, 0, v9, vcc_lo
	v_or_b32_e32 v7, 0x1000, v7
	v_add_co_u32 v5, vcc_lo, 0x800, v1
	s_clause 0x1
	global_load_dword v10, v[1:2], off
	global_load_dword v11, v[1:2], off offset:1024
	v_add_co_ci_u32_e32 v6, vcc_lo, 0, v2, vcc_lo
	v_add_co_u32 v7, vcc_lo, v8, v7
	v_add_co_ci_u32_e32 v8, vcc_lo, 0, v9, vcc_lo
	s_clause 0x2
	global_load_dword v12, v[5:6], off
	global_load_dword v5, v[5:6], off offset:1024
	global_load_dword v6, v[7:8], off
	s_waitcnt vmcnt(4)
	v_add_f32_e32 v7, 0, v10
	s_waitcnt vmcnt(3)
	v_add_f32_e32 v7, v7, v11
	;; [unrolled: 2-line block ×5, first 2 shown]
	v_cmpx_gt_u32_e32 0x300, v0
	s_cbranch_execz .LBB0_3
; %bb.2:
	v_add_co_u32 v6, vcc_lo, 0x1000, v1
	v_add_co_ci_u32_e32 v7, vcc_lo, 0, v2, vcc_lo
	global_load_dword v6, v[6:7], off offset:1024
	s_waitcnt vmcnt(0)
	v_add_f32_e32 v5, v5, v6
.LBB0_3:
	s_or_b32 exec_lo, exec_lo, s0
	s_mov_b32 s0, exec_lo
	v_cmpx_gt_u32_e32 0x200, v0
	s_cbranch_execz .LBB0_5
; %bb.4:
	v_add_co_u32 v6, vcc_lo, 0x1800, v1
	v_add_co_ci_u32_e32 v7, vcc_lo, 0, v2, vcc_lo
	global_load_dword v6, v[6:7], off
	s_waitcnt vmcnt(0)
	v_add_f32_e32 v5, v5, v6
.LBB0_5:
	s_or_b32 exec_lo, exec_lo, s0
	s_mov_b32 s0, exec_lo
	v_cmpx_gt_u32_e32 0x100, v0
	s_cbranch_execz .LBB0_7
; %bb.6:
	v_add_co_u32 v1, vcc_lo, 0x1800, v1
	v_add_co_ci_u32_e32 v2, vcc_lo, 0, v2, vcc_lo
	global_load_dword v1, v[1:2], off offset:1024
	s_waitcnt vmcnt(0)
	v_add_f32_e32 v5, v5, v1
.LBB0_7:
	s_or_b32 exec_lo, exec_lo, s0
	;;#ASMSTART
	s_nop 4
v_add_f32 v5 v5 v5 row_shr:1
s_nop 1
v_add_f32 v5 v5 v5 row_shr:2
s_nop 1
v_add_f32 v5 v5 v5 row_shr:4 bank_mask:0xe
s_nop 1
v_add_f32 v5 v5 v5 row_shr:8 bank_mask:0xc
s_nop 1

	;;#ASMEND
	ds_swizzle_b32 v1, v5 offset:swizzle(BROADCAST,32,15)
	v_and_b32_e32 v2, 31, v0
	s_mov_b32 s0, exec_lo
	v_cmpx_eq_u32_e32 31, v2
	s_cbranch_execz .LBB0_9
; %bb.8:
	v_lshrrev_b32_e32 v2, 3, v0
	s_waitcnt lgkmcnt(0)
	v_add_f32_e32 v1, v5, v1
	v_and_b32_e32 v2, 0x7c, v2
	ds_write_b32 v2, v1
.LBB0_9:
	s_or_b32 exec_lo, exec_lo, s0
	v_cmp_eq_u32_e32 vcc_lo, 0, v0
	s_waitcnt lgkmcnt(0)
	s_barrier
	buffer_gl0_inv
	s_and_b32 exec_lo, exec_lo, vcc_lo
	s_cbranch_execz .LBB0_11
; %bb.10:
	v_mov_b32_e32 v0, 0
	v_lshlrev_b32_e32 v1, 2, v4
	ds_read_b128 v[5:8], v0
	ds_read_b128 v[9:12], v0 offset:16
	v_lshl_or_b32 v1, v3, 4, v1
	s_waitcnt lgkmcnt(1)
	v_add_f32_e32 v0, 0, v5
	v_add_f32_e32 v0, v0, v6
	;; [unrolled: 1-line block ×4, first 2 shown]
	s_waitcnt lgkmcnt(0)
	v_add_f32_e32 v0, v0, v9
	v_add_f32_e32 v0, v0, v10
	v_add_f32_e32 v0, v0, v11
	v_add_f32_e32 v0, v0, v12
	global_store_dword v1, v0, s[2:3]
.LBB0_11:
	s_endpgm
	.section	.rodata,"a",@progbits
	.p2align	6, 0x0
	.amdhsa_kernel reduce_sum_block_f32
		.amdhsa_group_segment_fixed_size 32
		.amdhsa_private_segment_fixed_size 0
		.amdhsa_kernarg_size 272
		.amdhsa_user_sgpr_count 6
		.amdhsa_user_sgpr_private_segment_buffer 1
		.amdhsa_user_sgpr_dispatch_ptr 0
		.amdhsa_user_sgpr_queue_ptr 0
		.amdhsa_user_sgpr_kernarg_segment_ptr 1
		.amdhsa_user_sgpr_dispatch_id 0
		.amdhsa_user_sgpr_flat_scratch_init 0
		.amdhsa_user_sgpr_private_segment_size 0
		.amdhsa_wavefront_size32 1
		.amdhsa_uses_dynamic_stack 0
		.amdhsa_system_sgpr_private_segment_wavefront_offset 0
		.amdhsa_system_sgpr_workgroup_id_x 1
		.amdhsa_system_sgpr_workgroup_id_y 0
		.amdhsa_system_sgpr_workgroup_id_z 0
		.amdhsa_system_sgpr_workgroup_info 0
		.amdhsa_system_vgpr_workitem_id 0
		.amdhsa_next_free_vgpr 13
		.amdhsa_next_free_sgpr 7
		.amdhsa_reserve_vcc 1
		.amdhsa_reserve_flat_scratch 0
		.amdhsa_float_round_mode_32 0
		.amdhsa_float_round_mode_16_64 0
		.amdhsa_float_denorm_mode_32 3
		.amdhsa_float_denorm_mode_16_64 3
		.amdhsa_dx10_clamp 1
		.amdhsa_ieee_mode 1
		.amdhsa_fp16_overflow 0
		.amdhsa_workgroup_processor_mode 1
		.amdhsa_memory_ordered 1
		.amdhsa_forward_progress 0
		.amdhsa_shared_vgpr_count 0
		.amdhsa_exception_fp_ieee_invalid_op 0
		.amdhsa_exception_fp_denorm_src 0
		.amdhsa_exception_fp_ieee_div_zero 0
		.amdhsa_exception_fp_ieee_overflow 0
		.amdhsa_exception_fp_ieee_underflow 0
		.amdhsa_exception_fp_ieee_inexact 0
		.amdhsa_exception_int_div_zero 0
	.end_amdhsa_kernel
	.text
.Lfunc_end0:
	.size	reduce_sum_block_f32, .Lfunc_end0-reduce_sum_block_f32
                                        ; -- End function
	.section	.AMDGPU.csdata,"",@progbits
; Kernel info:
; codeLenInByte = 748
; NumSgprs: 9
; NumVgprs: 13
; ScratchSize: 0
; MemoryBound: 0
; FloatMode: 240
; IeeeMode: 1
; LDSByteSize: 32 bytes/workgroup (compile time only)
; SGPRBlocks: 1
; VGPRBlocks: 1
; NumSGPRsForWavesPerEU: 9
; NumVGPRsForWavesPerEU: 13
; Occupancy: 16
; WaveLimiterHint : 1
; COMPUTE_PGM_RSRC2:SCRATCH_EN: 0
; COMPUTE_PGM_RSRC2:USER_SGPR: 6
; COMPUTE_PGM_RSRC2:TRAP_HANDLER: 0
; COMPUTE_PGM_RSRC2:TGID_X_EN: 1
; COMPUTE_PGM_RSRC2:TGID_Y_EN: 0
; COMPUTE_PGM_RSRC2:TGID_Z_EN: 0
; COMPUTE_PGM_RSRC2:TIDIG_COMP_CNT: 0
	.text
	.protected	reduce_max_lane_f16     ; -- Begin function reduce_max_lane_f16
	.globl	reduce_max_lane_f16
	.p2align	8
	.type	reduce_max_lane_f16,@function
reduce_max_lane_f16:                    ; @reduce_max_lane_f16
; %bb.0:
	s_load_dword s0, s[4:5], 0x1c
	s_waitcnt lgkmcnt(0)
	s_and_b32 s0, s0, 0xffff
	v_mad_u64_u32 v[0:1], null, s6, s0, v[0:1]
	s_mov_b32 s0, exec_lo
	v_cmpx_gt_u32_e32 0x200, v0
	s_cbranch_execz .LBB1_4
; %bb.1:
	s_load_dwordx4 s[12:15], s[4:5], 0x0
	v_lshlrev_b32_e32 v1, 7, v0
	v_mov_b32_e32 v3, 0xfbff
	s_waitcnt lgkmcnt(0)
	v_add_co_u32 v1, s0, s12, v1
	v_add_co_ci_u32_e64 v2, null, s13, 0, s0
	s_mov_b64 s[12:13], 0
.LBB1_2:                                ; =>This Inner Loop Header: Depth=1
	v_add_co_u32 v4, vcc_lo, v1, s12
	v_add_co_ci_u32_e32 v5, vcc_lo, s13, v2, vcc_lo
	v_and_b32_e32 v8, 0x7fff, v3
	global_load_dwordx4 v[4:7], v[4:5], off
	v_cmp_lt_u16_e32 vcc_lo, 0x7c00, v8
	s_waitcnt vmcnt(0)
	v_and_b32_e32 v11, 0x7fff, v4
	v_cmp_gt_f16_e64 s0, v3, v4
	v_lshrrev_b32_e32 v8, 16, v4
	v_and_b32_e32 v13, 0x7fff, v5
	v_lshrrev_b32_e32 v9, 16, v5
	v_cmp_lt_u16_e64 s1, 0x7c00, v11
	v_cndmask_b32_e64 v12, v4, v3, s0
	v_cmp_gt_u16_e64 s0, 0x7c01, v11
	v_and_b32_e32 v11, 0x7fff, v8
	v_cmp_lt_u16_e64 s3, 0x7c00, v13
	s_and_b32 s1, vcc_lo, s1
	v_cmp_gt_u16_e64 s2, 0x7c01, v13
	v_cndmask_b32_e64 v12, v12, 0x7fff, s1
	s_or_b32 s11, vcc_lo, s0
	s_and_b32 vcc_lo, vcc_lo, s0
	v_cmp_gt_u16_e64 s1, 0x7c01, v11
	v_cmp_lt_u16_e64 s6, 0x7c00, v11
	v_cndmask_b32_e64 v3, v3, v12, s11
	v_and_b32_e32 v13, 0x7fff, v9
	v_and_b32_e32 v14, 0x7fff, v6
	v_lshrrev_b32_e32 v10, 16, v6
	v_cndmask_b32_e32 v3, v3, v4, vcc_lo
	v_cmp_lt_u16_e64 s8, 0x7c00, v13
	v_cmp_gt_u16_e64 s7, 0x7c01, v13
	v_cmp_lt_u16_e64 s5, 0x7c00, v14
	v_cmp_gt_u16_e64 s4, 0x7c01, v14
	v_and_b32_e32 v4, 0x7fff, v3
	v_cmp_gt_f16_e32 vcc_lo, v3, v8
	v_and_b32_e32 v14, 0x7fff, v10
	v_cndmask_b32_e32 v11, v8, v3, vcc_lo
	v_cmp_lt_u16_e32 vcc_lo, 0x7c00, v4
	v_cmp_lt_u16_e64 s10, 0x7c00, v14
	v_cmp_gt_u16_e64 s9, 0x7c01, v14
	s_and_b32 s0, vcc_lo, s6
	v_cndmask_b32_e64 v4, v11, 0x7fff, s0
	s_or_b32 s0, vcc_lo, s1
	s_and_b32 vcc_lo, vcc_lo, s1
	v_cndmask_b32_e64 v3, v3, v4, s0
	v_cndmask_b32_e32 v3, v3, v8, vcc_lo
	v_and_b32_e32 v4, 0x7fff, v3
	v_cmp_gt_f16_e32 vcc_lo, v3, v5
	v_cndmask_b32_e32 v8, v5, v3, vcc_lo
	v_cmp_lt_u16_e32 vcc_lo, 0x7c00, v4
	s_and_b32 s0, vcc_lo, s3
	v_cndmask_b32_e64 v4, v8, 0x7fff, s0
	s_or_b32 s0, vcc_lo, s2
	s_and_b32 vcc_lo, vcc_lo, s2
	v_cndmask_b32_e64 v3, v3, v4, s0
	v_cndmask_b32_e32 v3, v3, v5, vcc_lo
	v_and_b32_e32 v4, 0x7fff, v3
	v_cmp_gt_f16_e32 vcc_lo, v3, v9
	v_cndmask_b32_e32 v5, v9, v3, vcc_lo
	v_cmp_lt_u16_e32 vcc_lo, 0x7c00, v4
	;; [unrolled: 10-line block ×4, first 2 shown]
	s_and_b32 s0, vcc_lo, s10
	v_cndmask_b32_e64 v4, v5, 0x7fff, s0
	s_or_b32 s0, vcc_lo, s9
	s_and_b32 vcc_lo, vcc_lo, s9
	v_cndmask_b32_e64 v3, v3, v4, s0
	v_and_b32_e32 v4, 0x7fff, v7
	v_cndmask_b32_e32 v3, v3, v10, vcc_lo
	v_cmp_lt_u16_e32 vcc_lo, 0x7c00, v4
	v_cmp_gt_u16_e64 s1, 0x7c01, v4
	v_and_b32_e32 v5, 0x7fff, v3
	v_cmp_gt_f16_e64 s0, v3, v7
	v_cndmask_b32_e64 v6, v7, v3, s0
	v_cmp_lt_u16_e64 s0, 0x7c00, v5
	s_and_b32 s2, s0, vcc_lo
	s_or_b32 vcc_lo, s0, s1
	v_cndmask_b32_e64 v4, v6, 0x7fff, s2
	v_cndmask_b32_e32 v3, v3, v4, vcc_lo
	s_and_b32 vcc_lo, s0, s1
	v_lshrrev_b32_e32 v4, 16, v7
	v_cndmask_b32_e32 v3, v3, v7, vcc_lo
	v_and_b32_e32 v5, 0x7fff, v4
	v_and_b32_e32 v6, 0x7fff, v3
	v_cmp_gt_f16_e64 s0, v3, v4
	v_cmp_lt_u16_e32 vcc_lo, 0x7c00, v5
	v_cmp_gt_u16_e64 s1, 0x7c01, v5
	v_cndmask_b32_e64 v7, v4, v3, s0
	v_cmp_lt_u16_e64 s0, 0x7c00, v6
	s_and_b32 s2, s0, vcc_lo
	s_or_b32 vcc_lo, s0, s1
	v_cndmask_b32_e64 v5, v7, 0x7fff, s2
	v_cndmask_b32_e32 v3, v3, v5, vcc_lo
	s_and_b32 vcc_lo, s0, s1
	s_add_u32 s12, s12, 16
	s_addc_u32 s13, s13, 0
	s_cmpk_lg_i32 s12, 0x80
	v_cndmask_b32_e32 v3, v3, v4, vcc_lo
	s_cbranch_scc1 .LBB1_2
; %bb.3:
	v_mov_b32_e32 v1, 0
	v_lshlrev_b64 v[0:1], 1, v[0:1]
	v_add_co_u32 v0, vcc_lo, s14, v0
	v_add_co_ci_u32_e32 v1, vcc_lo, s15, v1, vcc_lo
	global_store_short v[0:1], v3, off
.LBB1_4:
	s_endpgm
	.section	.rodata,"a",@progbits
	.p2align	6, 0x0
	.amdhsa_kernel reduce_max_lane_f16
		.amdhsa_group_segment_fixed_size 0
		.amdhsa_private_segment_fixed_size 0
		.amdhsa_kernarg_size 272
		.amdhsa_user_sgpr_count 6
		.amdhsa_user_sgpr_private_segment_buffer 1
		.amdhsa_user_sgpr_dispatch_ptr 0
		.amdhsa_user_sgpr_queue_ptr 0
		.amdhsa_user_sgpr_kernarg_segment_ptr 1
		.amdhsa_user_sgpr_dispatch_id 0
		.amdhsa_user_sgpr_flat_scratch_init 0
		.amdhsa_user_sgpr_private_segment_size 0
		.amdhsa_wavefront_size32 1
		.amdhsa_uses_dynamic_stack 0
		.amdhsa_system_sgpr_private_segment_wavefront_offset 0
		.amdhsa_system_sgpr_workgroup_id_x 1
		.amdhsa_system_sgpr_workgroup_id_y 0
		.amdhsa_system_sgpr_workgroup_id_z 0
		.amdhsa_system_sgpr_workgroup_info 0
		.amdhsa_system_vgpr_workitem_id 0
		.amdhsa_next_free_vgpr 15
		.amdhsa_next_free_sgpr 16
		.amdhsa_reserve_vcc 1
		.amdhsa_reserve_flat_scratch 0
		.amdhsa_float_round_mode_32 0
		.amdhsa_float_round_mode_16_64 0
		.amdhsa_float_denorm_mode_32 3
		.amdhsa_float_denorm_mode_16_64 3
		.amdhsa_dx10_clamp 1
		.amdhsa_ieee_mode 1
		.amdhsa_fp16_overflow 0
		.amdhsa_workgroup_processor_mode 1
		.amdhsa_memory_ordered 1
		.amdhsa_forward_progress 0
		.amdhsa_shared_vgpr_count 0
		.amdhsa_exception_fp_ieee_invalid_op 0
		.amdhsa_exception_fp_denorm_src 0
		.amdhsa_exception_fp_ieee_div_zero 0
		.amdhsa_exception_fp_ieee_overflow 0
		.amdhsa_exception_fp_ieee_underflow 0
		.amdhsa_exception_fp_ieee_inexact 0
		.amdhsa_exception_int_div_zero 0
	.end_amdhsa_kernel
	.text
.Lfunc_end1:
	.size	reduce_max_lane_f16, .Lfunc_end1-reduce_max_lane_f16
                                        ; -- End function
	.section	.AMDGPU.csdata,"",@progbits
; Kernel info:
; codeLenInByte = 932
; NumSgprs: 18
; NumVgprs: 15
; ScratchSize: 0
; MemoryBound: 0
; FloatMode: 240
; IeeeMode: 1
; LDSByteSize: 0 bytes/workgroup (compile time only)
; SGPRBlocks: 2
; VGPRBlocks: 1
; NumSGPRsForWavesPerEU: 18
; NumVGPRsForWavesPerEU: 15
; Occupancy: 16
; WaveLimiterHint : 0
; COMPUTE_PGM_RSRC2:SCRATCH_EN: 0
; COMPUTE_PGM_RSRC2:USER_SGPR: 6
; COMPUTE_PGM_RSRC2:TRAP_HANDLER: 0
; COMPUTE_PGM_RSRC2:TGID_X_EN: 1
; COMPUTE_PGM_RSRC2:TGID_Y_EN: 0
; COMPUTE_PGM_RSRC2:TGID_Z_EN: 0
; COMPUTE_PGM_RSRC2:TIDIG_COMP_CNT: 0
	.text
	.p2alignl 6, 3214868480
	.fill 48, 4, 3214868480
	.type	__hip_cuid_e89ffe66c3b4e2c,@object ; @__hip_cuid_e89ffe66c3b4e2c
	.section	.bss,"aw",@nobits
	.globl	__hip_cuid_e89ffe66c3b4e2c
__hip_cuid_e89ffe66c3b4e2c:
	.byte	0                               ; 0x0
	.size	__hip_cuid_e89ffe66c3b4e2c, 1

	.ident	"AMD clang version 19.0.0git (https://github.com/RadeonOpenCompute/llvm-project roc-6.4.0 25133 c7fe45cf4b819c5991fe208aaa96edf142730f1d)"
	.section	".note.GNU-stack","",@progbits
	.addrsig
	.addrsig_sym __hip_cuid_e89ffe66c3b4e2c
	.amdgpu_metadata
---
amdhsa.kernels:
  - .args:
      - .address_space:  global
        .offset:         0
        .size:           8
        .value_kind:     global_buffer
      - .address_space:  global
        .offset:         8
        .size:           8
        .value_kind:     global_buffer
      - .offset:         16
        .size:           4
        .value_kind:     hidden_block_count_x
      - .offset:         20
        .size:           4
        .value_kind:     hidden_block_count_y
      - .offset:         24
        .size:           4
        .value_kind:     hidden_block_count_z
      - .offset:         28
        .size:           2
        .value_kind:     hidden_group_size_x
      - .offset:         30
        .size:           2
        .value_kind:     hidden_group_size_y
      - .offset:         32
        .size:           2
        .value_kind:     hidden_group_size_z
      - .offset:         34
        .size:           2
        .value_kind:     hidden_remainder_x
      - .offset:         36
        .size:           2
        .value_kind:     hidden_remainder_y
      - .offset:         38
        .size:           2
        .value_kind:     hidden_remainder_z
      - .offset:         56
        .size:           8
        .value_kind:     hidden_global_offset_x
      - .offset:         64
        .size:           8
        .value_kind:     hidden_global_offset_y
      - .offset:         72
        .size:           8
        .value_kind:     hidden_global_offset_z
      - .offset:         80
        .size:           2
        .value_kind:     hidden_grid_dims
    .group_segment_fixed_size: 32
    .kernarg_segment_align: 8
    .kernarg_segment_size: 272
    .language:       OpenCL C
    .language_version:
      - 2
      - 0
    .max_flat_workgroup_size: 1024
    .name:           reduce_sum_block_f32
    .private_segment_fixed_size: 0
    .sgpr_count:     9
    .sgpr_spill_count: 0
    .symbol:         reduce_sum_block_f32.kd
    .uniform_work_group_size: 1
    .uses_dynamic_stack: false
    .vgpr_count:     13
    .vgpr_spill_count: 0
    .wavefront_size: 32
    .workgroup_processor_mode: 1
  - .args:
      - .address_space:  global
        .offset:         0
        .size:           8
        .value_kind:     global_buffer
      - .address_space:  global
        .offset:         8
        .size:           8
        .value_kind:     global_buffer
      - .offset:         16
        .size:           4
        .value_kind:     hidden_block_count_x
      - .offset:         20
        .size:           4
        .value_kind:     hidden_block_count_y
      - .offset:         24
        .size:           4
        .value_kind:     hidden_block_count_z
      - .offset:         28
        .size:           2
        .value_kind:     hidden_group_size_x
      - .offset:         30
        .size:           2
        .value_kind:     hidden_group_size_y
      - .offset:         32
        .size:           2
        .value_kind:     hidden_group_size_z
      - .offset:         34
        .size:           2
        .value_kind:     hidden_remainder_x
      - .offset:         36
        .size:           2
        .value_kind:     hidden_remainder_y
      - .offset:         38
        .size:           2
        .value_kind:     hidden_remainder_z
      - .offset:         56
        .size:           8
        .value_kind:     hidden_global_offset_x
      - .offset:         64
        .size:           8
        .value_kind:     hidden_global_offset_y
      - .offset:         72
        .size:           8
        .value_kind:     hidden_global_offset_z
      - .offset:         80
        .size:           2
        .value_kind:     hidden_grid_dims
    .group_segment_fixed_size: 0
    .kernarg_segment_align: 8
    .kernarg_segment_size: 272
    .language:       OpenCL C
    .language_version:
      - 2
      - 0
    .max_flat_workgroup_size: 1024
    .name:           reduce_max_lane_f16
    .private_segment_fixed_size: 0
    .sgpr_count:     18
    .sgpr_spill_count: 0
    .symbol:         reduce_max_lane_f16.kd
    .uniform_work_group_size: 1
    .uses_dynamic_stack: false
    .vgpr_count:     15
    .vgpr_spill_count: 0
    .wavefront_size: 32
    .workgroup_processor_mode: 1
amdhsa.target:   amdgcn-amd-amdhsa--gfx1030
amdhsa.version:
  - 1
  - 2
...

	.end_amdgpu_metadata
